;; amdgpu-corpus repo=ROCm/rocFFT kind=compiled arch=gfx950 opt=O3
	.text
	.amdgcn_target "amdgcn-amd-amdhsa--gfx950"
	.amdhsa_code_object_version 6
	.protected	fft_rtc_back_len112_factors_16_7_wgs_256_tpt_16_sp_ip_CI_unitstride_sbrr_C2R_dirReg ; -- Begin function fft_rtc_back_len112_factors_16_7_wgs_256_tpt_16_sp_ip_CI_unitstride_sbrr_C2R_dirReg
	.globl	fft_rtc_back_len112_factors_16_7_wgs_256_tpt_16_sp_ip_CI_unitstride_sbrr_C2R_dirReg
	.p2align	8
	.type	fft_rtc_back_len112_factors_16_7_wgs_256_tpt_16_sp_ip_CI_unitstride_sbrr_C2R_dirReg,@function
fft_rtc_back_len112_factors_16_7_wgs_256_tpt_16_sp_ip_CI_unitstride_sbrr_C2R_dirReg: ; @fft_rtc_back_len112_factors_16_7_wgs_256_tpt_16_sp_ip_CI_unitstride_sbrr_C2R_dirReg
; %bb.0:
	s_load_dwordx2 s[8:9], s[0:1], 0x50
	s_load_dwordx4 s[4:7], s[0:1], 0x0
	s_load_dwordx2 s[10:11], s[0:1], 0x18
	v_lshrrev_b32_e32 v1, 4, v0
	v_lshl_or_b32 v6, s2, 4, v1
	v_mov_b32_e32 v4, 0
	s_waitcnt lgkmcnt(0)
	v_cmp_lt_u64_e64 s[2:3], s[6:7], 2
	v_mov_b32_e32 v7, v4
	s_and_b64 vcc, exec, s[2:3]
	v_mov_b64_e32 v[2:3], 0
	s_cbranch_vccnz .LBB0_8
; %bb.1:
	s_load_dwordx2 s[2:3], s[0:1], 0x10
	s_add_u32 s12, s10, 8
	s_addc_u32 s13, s11, 0
	s_mov_b64 s[14:15], 1
	v_mov_b64_e32 v[2:3], 0
	s_waitcnt lgkmcnt(0)
	s_add_u32 s16, s2, 8
	s_addc_u32 s17, s3, 0
.LBB0_2:                                ; =>This Inner Loop Header: Depth=1
	s_load_dwordx2 s[18:19], s[16:17], 0x0
                                        ; implicit-def: $vgpr8_vgpr9
	s_waitcnt lgkmcnt(0)
	v_or_b32_e32 v5, s19, v7
	v_cmp_ne_u64_e32 vcc, 0, v[4:5]
	s_and_saveexec_b64 s[2:3], vcc
	s_xor_b64 s[20:21], exec, s[2:3]
	s_cbranch_execz .LBB0_4
; %bb.3:                                ;   in Loop: Header=BB0_2 Depth=1
	v_cvt_f32_u32_e32 v5, s18
	v_cvt_f32_u32_e32 v8, s19
	s_sub_u32 s2, 0, s18
	s_subb_u32 s3, 0, s19
	v_fmac_f32_e32 v5, 0x4f800000, v8
	v_rcp_f32_e32 v5, v5
	s_nop 0
	v_mul_f32_e32 v5, 0x5f7ffffc, v5
	v_mul_f32_e32 v8, 0x2f800000, v5
	v_trunc_f32_e32 v8, v8
	v_fmac_f32_e32 v5, 0xcf800000, v8
	v_cvt_u32_f32_e32 v12, v8
	v_cvt_u32_f32_e32 v5, v5
	v_mul_lo_u32 v8, s2, v12
	v_mul_hi_u32 v10, s2, v5
	v_mul_lo_u32 v9, s3, v5
	v_add_u32_e32 v10, v10, v8
	v_mul_lo_u32 v13, s2, v5
	v_add_u32_e32 v14, v10, v9
	v_mul_hi_u32 v8, v5, v13
	v_mul_hi_u32 v11, v5, v14
	v_mul_lo_u32 v10, v5, v14
	v_mov_b32_e32 v9, v4
	v_lshl_add_u64 v[8:9], v[8:9], 0, v[10:11]
	v_mul_hi_u32 v11, v12, v13
	v_mul_lo_u32 v13, v12, v13
	v_add_co_u32_e32 v8, vcc, v8, v13
	v_mul_hi_u32 v10, v12, v14
	s_nop 0
	v_addc_co_u32_e32 v8, vcc, v9, v11, vcc
	v_mov_b32_e32 v9, v4
	s_nop 0
	v_addc_co_u32_e32 v11, vcc, 0, v10, vcc
	v_mul_lo_u32 v10, v12, v14
	v_lshl_add_u64 v[8:9], v[8:9], 0, v[10:11]
	v_add_co_u32_e32 v5, vcc, v5, v8
	v_mul_lo_u32 v10, s2, v5
	s_nop 0
	v_addc_co_u32_e32 v12, vcc, v12, v9, vcc
	v_mul_lo_u32 v8, s2, v12
	v_mul_hi_u32 v9, s2, v5
	v_add_u32_e32 v8, v9, v8
	v_mul_lo_u32 v9, s3, v5
	v_add_u32_e32 v13, v8, v9
	v_mul_hi_u32 v15, v12, v10
	v_mul_lo_u32 v16, v12, v10
	v_mul_hi_u32 v9, v5, v13
	v_mul_lo_u32 v8, v5, v13
	v_mul_hi_u32 v10, v5, v10
	v_mov_b32_e32 v11, v4
	v_lshl_add_u64 v[8:9], v[10:11], 0, v[8:9]
	v_add_co_u32_e32 v8, vcc, v8, v16
	v_mul_hi_u32 v14, v12, v13
	s_nop 0
	v_addc_co_u32_e32 v8, vcc, v9, v15, vcc
	v_mul_lo_u32 v10, v12, v13
	s_nop 0
	v_addc_co_u32_e32 v11, vcc, 0, v14, vcc
	v_mov_b32_e32 v9, v4
	v_lshl_add_u64 v[8:9], v[8:9], 0, v[10:11]
	v_add_co_u32_e32 v5, vcc, v5, v8
	v_mul_hi_u32 v10, v6, v5
	s_nop 0
	v_addc_co_u32_e32 v12, vcc, v12, v9, vcc
	v_mad_u64_u32 v[8:9], s[2:3], v6, v12, 0
	v_mov_b32_e32 v11, v4
	v_lshl_add_u64 v[8:9], v[10:11], 0, v[8:9]
	v_mad_u64_u32 v[10:11], s[2:3], v7, v12, 0
	v_mad_u64_u32 v[12:13], s[2:3], v7, v5, 0
	v_add_co_u32_e32 v5, vcc, v8, v12
	s_nop 1
	v_addc_co_u32_e32 v8, vcc, v9, v13, vcc
	v_mov_b32_e32 v9, v4
	s_nop 0
	v_addc_co_u32_e32 v11, vcc, 0, v11, vcc
	v_lshl_add_u64 v[8:9], v[8:9], 0, v[10:11]
	v_mul_lo_u32 v5, s19, v8
	v_mul_lo_u32 v12, s18, v9
	v_mad_u64_u32 v[10:11], s[2:3], s18, v8, 0
	v_add3_u32 v5, v11, v12, v5
	v_sub_u32_e32 v11, v7, v5
	v_mov_b32_e32 v12, s19
	v_sub_co_u32_e32 v14, vcc, v6, v10
	s_nop 1
	v_subb_co_u32_e64 v10, s[2:3], v11, v12, vcc
	v_subrev_co_u32_e64 v11, s[2:3], s18, v14
	v_subb_co_u32_e32 v5, vcc, v7, v5, vcc
	s_nop 0
	v_subbrev_co_u32_e64 v10, s[2:3], 0, v10, s[2:3]
	v_cmp_le_u32_e64 s[2:3], s19, v10
	v_cmp_le_u32_e32 vcc, s19, v5
	s_nop 0
	v_cndmask_b32_e64 v12, 0, -1, s[2:3]
	v_cmp_le_u32_e64 s[2:3], s18, v11
	s_nop 1
	v_cndmask_b32_e64 v11, 0, -1, s[2:3]
	v_cmp_eq_u32_e64 s[2:3], s19, v10
	s_nop 1
	v_cndmask_b32_e64 v15, v12, v11, s[2:3]
	v_lshl_add_u64 v[10:11], v[8:9], 0, 2
	v_lshl_add_u64 v[12:13], v[8:9], 0, 1
	v_cmp_ne_u32_e64 s[2:3], 0, v15
	s_nop 1
	v_cndmask_b32_e64 v11, v13, v11, s[2:3]
	v_cndmask_b32_e64 v13, 0, -1, vcc
	v_cmp_le_u32_e32 vcc, s18, v14
	s_nop 1
	v_cndmask_b32_e64 v14, 0, -1, vcc
	v_cmp_eq_u32_e32 vcc, s19, v5
	s_nop 1
	v_cndmask_b32_e32 v5, v13, v14, vcc
	v_cmp_ne_u32_e32 vcc, 0, v5
	v_cndmask_b32_e64 v5, v12, v10, s[2:3]
	s_nop 0
	v_cndmask_b32_e32 v9, v9, v11, vcc
	v_cndmask_b32_e32 v8, v8, v5, vcc
.LBB0_4:                                ;   in Loop: Header=BB0_2 Depth=1
	s_andn2_saveexec_b64 s[2:3], s[20:21]
	s_cbranch_execz .LBB0_6
; %bb.5:                                ;   in Loop: Header=BB0_2 Depth=1
	v_cvt_f32_u32_e32 v5, s18
	s_sub_i32 s20, 0, s18
	v_rcp_iflag_f32_e32 v5, v5
	s_nop 0
	v_mul_f32_e32 v5, 0x4f7ffffe, v5
	v_cvt_u32_f32_e32 v5, v5
	v_mul_lo_u32 v8, s20, v5
	v_mul_hi_u32 v8, v5, v8
	v_add_u32_e32 v5, v5, v8
	v_mul_hi_u32 v5, v6, v5
	v_mul_lo_u32 v8, v5, s18
	v_sub_u32_e32 v8, v6, v8
	v_add_u32_e32 v9, 1, v5
	v_subrev_u32_e32 v10, s18, v8
	v_cmp_le_u32_e32 vcc, s18, v8
	s_nop 1
	v_cndmask_b32_e32 v8, v8, v10, vcc
	v_cndmask_b32_e32 v5, v5, v9, vcc
	v_add_u32_e32 v9, 1, v5
	v_cmp_le_u32_e32 vcc, s18, v8
	s_nop 1
	v_cndmask_b32_e32 v8, v5, v9, vcc
	v_mov_b32_e32 v9, v4
.LBB0_6:                                ;   in Loop: Header=BB0_2 Depth=1
	s_or_b64 exec, exec, s[2:3]
	v_mad_u64_u32 v[10:11], s[2:3], v8, s18, 0
	s_load_dwordx2 s[2:3], s[12:13], 0x0
	v_mul_lo_u32 v5, v9, s18
	v_mul_lo_u32 v12, v8, s19
	v_add3_u32 v5, v11, v12, v5
	v_sub_co_u32_e32 v6, vcc, v6, v10
	s_add_u32 s14, s14, 1
	s_nop 0
	v_subb_co_u32_e32 v5, vcc, v7, v5, vcc
	s_addc_u32 s15, s15, 0
	s_waitcnt lgkmcnt(0)
	v_mul_lo_u32 v5, s2, v5
	v_mul_lo_u32 v7, s3, v6
	v_mad_u64_u32 v[2:3], s[2:3], s2, v6, v[2:3]
	s_add_u32 s12, s12, 8
	v_add3_u32 v3, v7, v3, v5
	s_addc_u32 s13, s13, 0
	v_mov_b64_e32 v[6:7], s[6:7]
	s_add_u32 s16, s16, 8
	v_cmp_ge_u64_e32 vcc, s[14:15], v[6:7]
	s_addc_u32 s17, s17, 0
	s_cbranch_vccnz .LBB0_9
; %bb.7:                                ;   in Loop: Header=BB0_2 Depth=1
	v_mov_b64_e32 v[6:7], v[8:9]
	s_branch .LBB0_2
.LBB0_8:
	v_mov_b64_e32 v[8:9], v[6:7]
.LBB0_9:
	s_lshl_b64 s[2:3], s[6:7], 3
	s_add_u32 s2, s10, s2
	s_addc_u32 s3, s11, s3
	s_load_dwordx2 s[6:7], s[2:3], 0x0
	s_load_dwordx2 s[10:11], s[0:1], 0x20
	v_and_b32_e32 v30, 15, v0
	s_waitcnt lgkmcnt(0)
	v_mul_lo_u32 v4, s6, v9
	v_mul_lo_u32 v5, s7, v8
	v_mad_u64_u32 v[2:3], s[0:1], s6, v8, v[2:3]
	v_add3_u32 v3, v5, v3, v4
	v_mul_u32_u24_e32 v4, 0x71, v1
	v_cmp_gt_u64_e32 vcc, s[10:11], v[8:9]
	v_lshl_add_u64 v[28:29], v[2:3], 3, s[8:9]
	v_lshlrev_b32_e32 v38, 3, v4
	s_and_saveexec_b64 s[2:3], vcc
	s_cbranch_execz .LBB0_13
; %bb.10:
	v_lshlrev_b32_e32 v0, 3, v30
	v_mov_b32_e32 v1, 0
	v_lshl_add_u64 v[2:3], v[28:29], 0, v[0:1]
	global_load_dwordx2 v[6:7], v[2:3], off
	global_load_dwordx2 v[8:9], v[2:3], off offset:128
	global_load_dwordx2 v[10:11], v[2:3], off offset:256
	;; [unrolled: 1-line block ×6, first 2 shown]
	v_add3_u32 v0, 0, v38, v0
	v_cmp_eq_u32_e64 s[0:1], 15, v30
	s_waitcnt vmcnt(5)
	ds_write2_b64 v0, v[6:7], v[8:9] offset1:16
	s_waitcnt vmcnt(3)
	ds_write2_b64 v0, v[10:11], v[12:13] offset0:32 offset1:48
	s_waitcnt vmcnt(1)
	ds_write2_b64 v0, v[14:15], v[16:17] offset0:64 offset1:80
	s_waitcnt vmcnt(0)
	ds_write_b64 v0, v[18:19] offset:768
	s_and_saveexec_b64 s[6:7], s[0:1]
	s_cbranch_execz .LBB0_12
; %bb.11:
	global_load_dwordx2 v[2:3], v[28:29], off offset:896
	v_mov_b32_e32 v30, 15
	s_waitcnt vmcnt(0)
	ds_write_b64 v0, v[2:3] offset:776
.LBB0_12:
	s_or_b64 exec, exec, s[6:7]
.LBB0_13:
	s_or_b64 exec, exec, s[2:3]
	v_lshl_add_u32 v36, v4, 3, 0
	v_lshlrev_b32_e32 v6, 3, v30
	v_add_u32_e32 v37, v36, v6
	s_waitcnt lgkmcnt(0)
	s_barrier
	v_sub_u32_e32 v5, v36, v6
	ds_read_b32 v1, v37
	ds_read_b32 v2, v5 offset:896
	v_cmp_ne_u32_e64 s[0:1], 0, v30
	s_waitcnt lgkmcnt(0)
	v_add_f32_e32 v0, v2, v1
	v_sub_f32_e32 v1, v1, v2
                                        ; implicit-def: $vgpr2_vgpr3
	s_and_saveexec_b64 s[2:3], s[0:1]
	s_xor_b64 s[0:1], exec, s[2:3]
	s_cbranch_execz .LBB0_15
; %bb.14:
	global_load_dwordx2 v[6:7], v6, s[4:5] offset:768
	ds_read_b32 v11, v5 offset:900
	ds_read_b32 v12, v37 offset:4
	v_mov_b32_e32 v8, v1
	v_mov_b32_e32 v10, v0
	;; [unrolled: 1-line block ×4, first 2 shown]
	s_waitcnt lgkmcnt(0)
	v_add_f32_e32 v9, v11, v12
	v_sub_f32_e32 v11, v12, v11
	v_mov_b32_e32 v12, v9
	v_mov_b64_e32 v[2:3], v[30:31]
	s_waitcnt vmcnt(0)
	v_pk_mul_f32 v[14:15], v[8:9], v[6:7] op_sel:[0,1]
	v_pk_fma_f32 v[8:9], v[8:9], v[6:7], v[10:11] op_sel:[0,1,0]
	v_mov_b32_e32 v1, v15
	v_mov_b32_e32 v15, v11
	v_pk_fma_f32 v[16:17], v[6:7], v[12:13], v[8:9] neg_lo:[1,0,0] neg_hi:[1,0,0]
	v_pk_fma_f32 v[8:9], v[6:7], v[12:13], v[8:9] op_sel_hi:[0,1,1]
	v_pk_add_f32 v[0:1], v[0:1], v[14:15] neg_lo:[0,1] neg_hi:[0,1]
	v_mov_b32_e32 v17, v9
	v_pk_fma_f32 v[0:1], v[6:7], v[12:13], v[0:1] op_sel_hi:[0,1,1]
	ds_write_b64 v5, v[0:1] offset:896
	v_mov_b64_e32 v[0:1], v[16:17]
.LBB0_15:
	s_andn2_saveexec_b64 s[0:1], s[0:1]
	s_cbranch_execz .LBB0_17
; %bb.16:
	ds_read_b64 v[2:3], v36 offset:448
	s_mov_b32 s2, 2.0
	s_mov_b32 s3, -2.0
	s_waitcnt lgkmcnt(0)
	v_pk_mul_f32 v[2:3], v[2:3], s[2:3]
	ds_write_b64 v36, v[2:3] offset:448
	v_mov_b64_e32 v[2:3], 0
.LBB0_17:
	s_or_b64 exec, exec, s[0:1]
	s_add_u32 s0, s4, 0x300
	s_addc_u32 s1, s5, 0
	v_lshl_add_u64 v[2:3], v[2:3], 3, s[0:1]
	global_load_dwordx2 v[6:7], v[2:3], off offset:128
	global_load_dwordx2 v[8:9], v[2:3], off offset:256
	ds_write_b64 v37, v[0:1]
	ds_read_b64 v[0:1], v5 offset:768
	ds_read_b64 v[10:11], v37 offset:128
	s_waitcnt lgkmcnt(0)
	v_pk_add_f32 v[12:13], v[10:11], v[0:1]
	v_pk_add_f32 v[0:1], v[10:11], v[0:1] neg_lo:[0,1] neg_hi:[0,1]
	v_mov_b32_e32 v10, v13
	v_mov_b32_e32 v11, v0
	;; [unrolled: 1-line block ×3, first 2 shown]
	s_waitcnt vmcnt(1)
	v_pk_mul_f32 v[14:15], v[10:11], v[6:7] op_sel:[0,1]
	s_nop 0
	v_pk_add_f32 v[16:17], v[12:13], v[14:15] op_sel:[0,1] op_sel_hi:[1,0]
	v_mov_b32_e32 v13, v14
	v_mov_b32_e32 v0, v15
	v_pk_fma_f32 v[14:15], v[6:7], v[10:11], v[16:17] neg_lo:[1,0,0] neg_hi:[1,0,0]
	v_pk_fma_f32 v[16:17], v[6:7], v[10:11], v[16:17] op_sel_hi:[0,1,1]
	v_pk_add_f32 v[0:1], v[12:13], v[0:1] neg_lo:[0,1] neg_hi:[0,1]
	v_mov_b32_e32 v15, v17
	v_pk_fma_f32 v[0:1], v[6:7], v[10:11], v[0:1] op_sel_hi:[0,1,1]
	ds_write_b64 v37, v[14:15] offset:128
	ds_write_b64 v5, v[0:1] offset:768
	ds_read_b64 v[0:1], v5 offset:640
	ds_read_b64 v[6:7], v37 offset:256
	v_or_b32_e32 v16, 48, v30
	v_cmp_gt_u32_e64 s[0:1], 56, v16
	s_waitcnt lgkmcnt(0)
	v_pk_add_f32 v[10:11], v[6:7], v[0:1]
	v_pk_add_f32 v[0:1], v[6:7], v[0:1] neg_lo:[0,1] neg_hi:[0,1]
	v_mov_b32_e32 v6, v11
	v_mov_b32_e32 v7, v0
	;; [unrolled: 1-line block ×3, first 2 shown]
	s_waitcnt vmcnt(0)
	v_pk_mul_f32 v[12:13], v[6:7], v[8:9] op_sel:[0,1]
	s_nop 0
	v_pk_add_f32 v[14:15], v[10:11], v[12:13] op_sel:[0,1] op_sel_hi:[1,0]
	v_mov_b32_e32 v11, v12
	v_mov_b32_e32 v0, v13
	v_pk_fma_f32 v[12:13], v[8:9], v[6:7], v[14:15] neg_lo:[1,0,0] neg_hi:[1,0,0]
	v_pk_fma_f32 v[14:15], v[8:9], v[6:7], v[14:15] op_sel_hi:[0,1,1]
	v_pk_add_f32 v[0:1], v[10:11], v[0:1] neg_lo:[0,1] neg_hi:[0,1]
	v_mov_b32_e32 v13, v15
	v_pk_fma_f32 v[0:1], v[8:9], v[6:7], v[0:1] op_sel_hi:[0,1,1]
	ds_write_b64 v37, v[12:13] offset:256
	ds_write_b64 v5, v[0:1] offset:640
	s_and_saveexec_b64 s[2:3], s[0:1]
	s_cbranch_execz .LBB0_19
; %bb.18:
	global_load_dwordx2 v[0:1], v[2:3], off offset:384
	ds_read_b64 v[2:3], v5 offset:512
	ds_read_b64 v[6:7], v37 offset:384
	s_waitcnt lgkmcnt(0)
	v_pk_add_f32 v[8:9], v[6:7], v[2:3]
	v_pk_add_f32 v[2:3], v[6:7], v[2:3] neg_lo:[0,1] neg_hi:[0,1]
	v_mov_b32_e32 v6, v9
	v_mov_b32_e32 v7, v2
	;; [unrolled: 1-line block ×3, first 2 shown]
	s_waitcnt vmcnt(0)
	v_pk_mul_f32 v[10:11], v[6:7], v[0:1] op_sel:[0,1]
	s_nop 0
	v_pk_add_f32 v[12:13], v[8:9], v[10:11] op_sel:[0,1] op_sel_hi:[1,0]
	v_mov_b32_e32 v9, v10
	v_mov_b32_e32 v2, v11
	v_pk_fma_f32 v[10:11], v[0:1], v[6:7], v[12:13] neg_lo:[1,0,0] neg_hi:[1,0,0]
	v_pk_fma_f32 v[12:13], v[0:1], v[6:7], v[12:13] op_sel_hi:[0,1,1]
	v_pk_add_f32 v[2:3], v[8:9], v[2:3] neg_lo:[0,1] neg_hi:[0,1]
	v_mov_b32_e32 v11, v13
	v_pk_fma_f32 v[0:1], v[0:1], v[6:7], v[2:3] op_sel_hi:[0,1,1]
	ds_write_b64 v37, v[10:11] offset:384
	ds_write_b64 v5, v[0:1] offset:512
.LBB0_19:
	s_or_b64 exec, exec, s[2:3]
	v_lshl_add_u32 v39, v30, 3, 0
	v_lshl_add_u32 v31, v4, 3, v39
	s_waitcnt lgkmcnt(0)
	s_barrier
	s_barrier
	ds_read2_b64 v[0:3], v31 offset0:7 offset1:14
	ds_read2_b64 v[8:11], v31 offset0:21 offset1:28
	;; [unrolled: 1-line block ×7, first 2 shown]
	ds_read_b64 v[32:33], v37
	ds_read_b64 v[34:35], v31 offset:840
	v_cmp_gt_u32_e64 s[0:1], 7, v30
	s_waitcnt lgkmcnt(0)
	s_barrier
	s_and_saveexec_b64 s[2:3], s[0:1]
	s_cbranch_execz .LBB0_21
; %bb.20:
	v_pk_add_f32 v[18:19], v[2:3], v[18:19] neg_lo:[0,1] neg_hi:[0,1]
	v_pk_add_f32 v[22:23], v[6:7], v[22:23] neg_lo:[0,1] neg_hi:[0,1]
	v_mul_u32_u24_e32 v40, 0x78, v30
	v_pk_add_f32 v[14:15], v[32:33], v[14:15] neg_lo:[0,1] neg_hi:[0,1]
	v_pk_add_f32 v[26:27], v[10:11], v[26:27] neg_lo:[0,1] neg_hi:[0,1]
	v_add3_u32 v50, v39, v40, v38
	v_pk_fma_f32 v[6:7], v[6:7], 2.0, v[22:23] op_sel_hi:[1,0,1] neg_lo:[0,0,1] neg_hi:[0,0,1]
	v_pk_add_f32 v[38:39], v[18:19], v[22:23] op_sel:[0,1] op_sel_hi:[1,0]
	v_pk_add_f32 v[22:23], v[18:19], v[22:23] op_sel:[0,1] op_sel_hi:[1,0] neg_lo:[0,1] neg_hi:[0,1]
	v_pk_add_f32 v[24:25], v[8:9], v[24:25] neg_lo:[0,1] neg_hi:[0,1]
	v_pk_add_f32 v[34:35], v[12:13], v[34:35] neg_lo:[0,1] neg_hi:[0,1]
	v_pk_fma_f32 v[10:11], v[10:11], 2.0, v[26:27] op_sel_hi:[1,0,1] neg_lo:[0,0,1] neg_hi:[0,0,1]
	v_mov_b32_e32 v39, v23
	v_pk_add_f32 v[22:23], v[14:15], v[26:27] op_sel:[0,1] op_sel_hi:[1,0]
	v_pk_add_f32 v[26:27], v[14:15], v[26:27] op_sel:[0,1] op_sel_hi:[1,0] neg_lo:[0,1] neg_hi:[0,1]
	v_pk_add_f32 v[16:17], v[0:1], v[16:17] neg_lo:[0,1] neg_hi:[0,1]
	v_pk_add_f32 v[20:21], v[4:5], v[20:21] neg_lo:[0,1] neg_hi:[0,1]
	v_pk_fma_f32 v[12:13], v[12:13], 2.0, v[34:35] op_sel_hi:[1,0,1] neg_lo:[0,0,1] neg_hi:[0,0,1]
	v_mov_b32_e32 v23, v27
	v_pk_add_f32 v[26:27], v[24:25], v[34:35] op_sel:[0,1] op_sel_hi:[1,0]
	v_pk_add_f32 v[34:35], v[24:25], v[34:35] op_sel:[0,1] op_sel_hi:[1,0] neg_lo:[0,1] neg_hi:[0,1]
	v_pk_fma_f32 v[2:3], v[2:3], 2.0, v[18:19] op_sel_hi:[1,0,1] neg_lo:[0,0,1] neg_hi:[0,0,1]
	v_pk_fma_f32 v[32:33], v[32:33], 2.0, v[14:15] op_sel_hi:[1,0,1] neg_lo:[0,0,1] neg_hi:[0,0,1]
	;; [unrolled: 1-line block ×3, first 2 shown]
	v_mov_b32_e32 v27, v35
	v_pk_add_f32 v[34:35], v[16:17], v[20:21] op_sel:[0,1] op_sel_hi:[1,0]
	v_pk_add_f32 v[20:21], v[16:17], v[20:21] op_sel:[0,1] op_sel_hi:[1,0] neg_lo:[0,1] neg_hi:[0,1]
	v_pk_fma_f32 v[18:19], v[18:19], 2.0, v[38:39] op_sel_hi:[1,0,1] neg_lo:[0,0,1] neg_hi:[0,0,1]
	s_mov_b32 s0, 0x3f3504f3
	v_pk_fma_f32 v[14:15], v[14:15], 2.0, v[22:23] op_sel_hi:[1,0,1] neg_lo:[0,0,1] neg_hi:[0,0,1]
	v_mov_b32_e32 v35, v21
	v_pk_mul_f32 v[20:21], v[18:19], s[0:1] op_sel_hi:[1,0]
	v_pk_fma_f32 v[18:19], v[18:19], s[0:1], v[14:15] op_sel_hi:[1,0,1] neg_lo:[1,0,0] neg_hi:[1,0,0]
	v_pk_fma_f32 v[0:1], v[0:1], 2.0, v[16:17] op_sel_hi:[1,0,1] neg_lo:[0,0,1] neg_hi:[0,0,1]
	v_pk_add_f32 v[40:41], v[18:19], v[20:21] op_sel:[0,1] op_sel_hi:[1,0]
	v_pk_add_f32 v[18:19], v[18:19], v[20:21] op_sel:[0,1] op_sel_hi:[1,0] neg_lo:[0,1] neg_hi:[0,1]
	v_pk_fma_f32 v[20:21], v[24:25], 2.0, v[26:27] op_sel_hi:[1,0,1] neg_lo:[0,0,1] neg_hi:[0,0,1]
	v_pk_fma_f32 v[16:17], v[16:17], 2.0, v[34:35] op_sel_hi:[1,0,1] neg_lo:[0,0,1] neg_hi:[0,0,1]
	;; [unrolled: 1-line block ×3, first 2 shown]
	v_pk_mul_f32 v[24:25], v[20:21], s[0:1] op_sel_hi:[1,0]
	v_pk_fma_f32 v[20:21], v[20:21], s[0:1], v[16:17] op_sel_hi:[1,0,1] neg_lo:[1,0,0] neg_hi:[1,0,0]
	v_pk_add_f32 v[6:7], v[2:3], v[6:7] neg_lo:[0,1] neg_hi:[0,1]
	v_pk_add_f32 v[42:43], v[20:21], v[24:25] op_sel:[0,1] op_sel_hi:[1,0]
	v_pk_add_f32 v[20:21], v[20:21], v[24:25] op_sel:[0,1] op_sel_hi:[1,0] neg_lo:[0,1] neg_hi:[0,1]
	v_pk_add_f32 v[10:11], v[32:33], v[10:11] neg_lo:[0,1] neg_hi:[0,1]
	v_pk_add_f32 v[12:13], v[8:9], v[12:13] neg_lo:[0,1] neg_hi:[0,1]
	;; [unrolled: 1-line block ×3, first 2 shown]
	v_mov_b32_e32 v41, v19
	v_mov_b32_e32 v43, v21
	v_pk_fma_f32 v[32:33], v[32:33], 2.0, v[10:11] op_sel_hi:[1,0,1] neg_lo:[0,0,1] neg_hi:[0,0,1]
	v_pk_fma_f32 v[2:3], v[2:3], 2.0, v[6:7] op_sel_hi:[1,0,1] neg_lo:[0,0,1] neg_hi:[0,0,1]
	;; [unrolled: 1-line block ×4, first 2 shown]
	s_mov_b32 s8, 0x3ec3ef15
	v_fmamk_f32 v18, v42, 0x3ec3ef15, v40
	s_mov_b32 s6, 0x3f6c835e
	v_pk_fma_f32 v[16:17], v[16:17], 2.0, v[42:43] op_sel_hi:[1,0,1] neg_lo:[0,0,1] neg_hi:[0,0,1]
	v_pk_fma_f32 v[14:15], v[14:15], 2.0, v[40:41] op_sel_hi:[1,0,1] neg_lo:[0,0,1] neg_hi:[0,0,1]
	v_pk_add_f32 v[2:3], v[32:33], v[2:3] neg_lo:[0,1] neg_hi:[0,1]
	v_pk_add_f32 v[8:9], v[0:1], v[8:9] neg_lo:[0,1] neg_hi:[0,1]
	v_fmac_f32_e32 v18, 0x3f6c835e, v21
	v_pk_mul_f32 v[24:25], v[16:17], s[8:9] op_sel_hi:[1,0]
	v_pk_fma_f32 v[16:17], v[16:17], s[6:7], v[14:15] op_sel_hi:[1,0,1] neg_lo:[1,0,0] neg_hi:[1,0,0]
	v_pk_fma_f32 v[32:33], v[32:33], 2.0, v[2:3] op_sel_hi:[1,0,1] neg_lo:[0,0,1] neg_hi:[0,0,1]
	v_pk_fma_f32 v[0:1], v[0:1], 2.0, v[8:9] op_sel_hi:[1,0,1] neg_lo:[0,0,1] neg_hi:[0,0,1]
	v_fma_f32 v20, v40, 2.0, -v18
	v_pk_add_f32 v[40:41], v[16:17], v[24:25] op_sel:[0,1] op_sel_hi:[1,0]
	v_pk_add_f32 v[16:17], v[16:17], v[24:25] op_sel:[0,1] op_sel_hi:[1,0] neg_lo:[0,1] neg_hi:[0,1]
	v_pk_add_f32 v[0:1], v[32:33], v[0:1] neg_lo:[0,1] neg_hi:[0,1]
	v_mov_b32_e32 v41, v17
	v_pk_fma_f32 v[32:33], v[32:33], 2.0, v[0:1] op_sel_hi:[1,0,1] neg_lo:[0,0,1] neg_hi:[0,0,1]
	v_pk_fma_f32 v[14:15], v[14:15], 2.0, v[40:41] op_sel_hi:[1,0,1] neg_lo:[0,0,1] neg_hi:[0,0,1]
	ds_write2_b64 v50, v[32:33], v[14:15] offset1:1
	v_pk_add_f32 v[14:15], v[10:11], v[6:7] op_sel:[0,1] op_sel_hi:[1,0]
	v_pk_add_f32 v[6:7], v[10:11], v[6:7] op_sel:[0,1] op_sel_hi:[1,0] neg_lo:[0,1] neg_hi:[0,1]
	v_pk_add_f32 v[24:25], v[4:5], v[12:13] op_sel:[0,1] op_sel_hi:[1,0]
	v_pk_add_f32 v[12:13], v[4:5], v[12:13] op_sel:[0,1] op_sel_hi:[1,0] neg_lo:[0,1] neg_hi:[0,1]
	v_mov_b32_e32 v15, v7
	v_mov_b32_e32 v25, v13
	v_pk_fma_f32 v[4:5], v[4:5], 2.0, v[24:25] op_sel_hi:[1,0,1] neg_lo:[0,0,1] neg_hi:[0,0,1]
	v_pk_fma_f32 v[10:11], v[10:11], 2.0, v[14:15] op_sel_hi:[1,0,1] neg_lo:[0,0,1] neg_hi:[0,0,1]
	v_pk_mul_f32 v[32:33], v[4:5], s[0:1] op_sel_hi:[1,0]
	v_pk_fma_f32 v[4:5], v[4:5], s[0:1], v[10:11] op_sel_hi:[1,0,1] neg_lo:[1,0,0] neg_hi:[1,0,0]
	v_mov_b32_e32 v43, v13
	v_pk_add_f32 v[44:45], v[4:5], v[32:33] op_sel:[0,1] op_sel_hi:[1,0]
	v_pk_add_f32 v[4:5], v[4:5], v[32:33] op_sel:[0,1] op_sel_hi:[1,0] neg_lo:[0,1] neg_hi:[0,1]
	v_pk_mul_f32 v[32:33], v[38:39], s[0:1] op_sel_hi:[1,0]
	v_pk_fma_f32 v[38:39], v[38:39], s[0:1], v[22:23] op_sel_hi:[1,0,1]
	v_mov_b32_e32 v45, v5
	v_pk_add_f32 v[46:47], v[38:39], v[32:33] op_sel:[0,1] op_sel_hi:[1,0]
	v_pk_add_f32 v[32:33], v[38:39], v[32:33] op_sel:[0,1] op_sel_hi:[1,0] neg_lo:[0,1] neg_hi:[0,1]
	v_pk_mul_f32 v[38:39], v[26:27], s[0:1] op_sel_hi:[1,0]
	v_pk_fma_f32 v[26:27], v[26:27], s[0:1], v[34:35] op_sel_hi:[1,0,1]
	v_mov_b32_e32 v47, v33
	v_pk_add_f32 v[48:49], v[26:27], v[38:39] op_sel:[0,1] op_sel_hi:[1,0]
	v_pk_add_f32 v[26:27], v[26:27], v[38:39] op_sel:[0,1] op_sel_hi:[1,0] neg_lo:[0,1] neg_hi:[0,1]
	v_fmamk_f32 v25, v48, 0x3f6c835e, v46
	v_mov_b32_e32 v49, v27
	v_fmamk_f32 v4, v27, 0x3f6c835e, v33
	v_fmamk_f32 v4, v48, 0xbec3ef15, v4
	v_fmac_f32_e32 v25, 0x3ec3ef15, v27
	v_pk_fma_f32 v[26:27], v[34:35], 2.0, v[48:49] op_sel_hi:[1,0,1] neg_lo:[0,0,1] neg_hi:[0,0,1]
	v_pk_fma_f32 v[22:23], v[22:23], 2.0, v[46:47] op_sel_hi:[1,0,1] neg_lo:[0,0,1] neg_hi:[0,0,1]
	v_fma_f32 v6, v33, 2.0, -v4
	v_pk_mul_f32 v[32:33], v[26:27], s[6:7] op_sel_hi:[1,0]
	v_pk_fma_f32 v[26:27], v[26:27], s[8:9], v[22:23] op_sel_hi:[1,0,1] neg_lo:[1,0,0] neg_hi:[1,0,0]
	v_pk_fma_f32 v[10:11], v[10:11], 2.0, v[44:45] op_sel_hi:[1,0,1] neg_lo:[0,0,1] neg_hi:[0,0,1]
	v_pk_add_f32 v[34:35], v[26:27], v[32:33] op_sel:[0,1] op_sel_hi:[1,0]
	v_pk_add_f32 v[26:27], v[26:27], v[32:33] op_sel:[0,1] op_sel_hi:[1,0] neg_lo:[0,1] neg_hi:[0,1]
	s_mov_b32 s9, s0
	v_mov_b32_e32 v35, v27
	v_pk_fma_f32 v[22:23], v[22:23], 2.0, v[34:35] op_sel_hi:[1,0,1] neg_lo:[0,0,1] neg_hi:[0,0,1]
	ds_write2_b64 v50, v[10:11], v[22:23] offset0:2 offset1:3
	v_pk_add_f32 v[10:11], v[2:3], v[8:9] op_sel:[0,1] op_sel_hi:[1,0]
	v_pk_add_f32 v[8:9], v[2:3], v[8:9] op_sel:[0,1] op_sel_hi:[1,0] neg_lo:[0,1] neg_hi:[0,1]
	s_mov_b32 s7, s0
	v_mov_b32_e32 v11, v9
	v_pk_fma_f32 v[2:3], v[2:3], 2.0, v[10:11] op_sel_hi:[1,0,1] neg_lo:[0,0,1] neg_hi:[0,0,1]
	v_fmamk_f32 v8, v13, 0x3f3504f3, v7
	ds_write_b64 v50, v[2:3] offset:32
	v_mov_b32_e32 v2, v21
	v_mov_b32_e32 v3, v24
	v_fmamk_f32 v24, v24, 0xbf3504f3, v8
	v_mov_b32_e32 v8, v19
	v_mov_b32_e32 v9, v14
	v_pk_fma_f32 v[2:3], v[2:3], s[8:9], v[8:9]
	s_nop 0
	v_pk_fma_f32 v[12:13], v[42:43], s[6:7], v[2:3] neg_lo:[1,0,0] neg_hi:[1,0,0]
	v_pk_fma_f32 v[2:3], v[42:43], s[6:7], v[2:3]
	s_nop 0
	v_mov_b32_e32 v13, v3
	v_pk_fma_f32 v[2:3], v[8:9], 2.0, v[12:13] op_sel_hi:[1,0,1] neg_lo:[0,0,1] neg_hi:[0,0,1]
	ds_write2_b32 v50, v2, v3 offset0:11 offset1:12
	v_mov_b32_e32 v2, v7
	v_mov_b32_e32 v3, v46
	v_pk_fma_f32 v[2:3], v[2:3], 2.0, v[24:25] op_sel_hi:[1,0,1] neg_lo:[0,0,1] neg_hi:[0,0,1]
	ds_write2_b32 v50, v2, v3 offset0:13 offset1:14
	ds_write2_b32 v50, v20, v6 offset0:10 offset1:15
	ds_write2_b64 v50, v[0:1], v[40:41] offset0:8 offset1:9
	ds_write2_b64 v50, v[44:45], v[34:35] offset0:10 offset1:11
	ds_write_b64 v50, v[10:11] offset:96
	ds_write2_b32 v50, v12, v13 offset0:27 offset1:28
	ds_write2_b32 v50, v24, v25 offset0:29 offset1:30
	;; [unrolled: 1-line block ×3, first 2 shown]
.LBB0_21:
	s_or_b64 exec, exec, s[2:3]
	v_mul_u32_u24_e32 v0, 6, v30
	v_lshlrev_b32_e32 v12, 3, v0
	s_waitcnt lgkmcnt(0)
	s_barrier
	global_load_dwordx4 v[0:3], v12, s[4:5] offset:16
	global_load_dwordx4 v[4:7], v12, s[4:5]
	global_load_dwordx4 v[8:11], v12, s[4:5] offset:32
	ds_read_b64 v[24:25], v37
	ds_read2_b64 v[12:15], v31 offset0:16 offset1:32
	ds_read2_b64 v[16:19], v31 offset0:48 offset1:64
	;; [unrolled: 1-line block ×3, first 2 shown]
	s_mov_b32 s2, 0x3f08b237
	s_mov_b32 s6, 0x3d64c772
	s_waitcnt lgkmcnt(2)
	v_mov_b32_e32 v26, v13
	v_mov_b32_e32 v32, v15
	s_waitcnt lgkmcnt(0)
	v_mov_b32_e32 v34, v21
	v_mov_b32_e32 v38, v23
	s_mov_b32 s3, 0xbeae86e6
	s_mov_b32 s7, 0x3f4a47b2
	;; [unrolled: 1-line block ×7, first 2 shown]
	s_barrier
	s_waitcnt vmcnt(2)
	v_mul_f32_e32 v44, v3, v19
	v_mul_f32_e32 v3, v3, v18
	s_waitcnt vmcnt(1)
	v_pk_mul_f32 v[46:47], v[4:5], v[12:13] op_sel_hi:[1,0]
	v_pk_mul_f32 v[48:49], v[6:7], v[14:15] op_sel_hi:[1,0]
	s_waitcnt vmcnt(0)
	v_pk_mul_f32 v[50:51], v[8:9], v[20:21] op_sel_hi:[1,0]
	v_pk_mul_f32 v[52:53], v[10:11], v[22:23] op_sel_hi:[1,0]
	v_mul_f32_e32 v40, v0, v16
	v_mul_f32_e32 v42, v1, v17
	;; [unrolled: 1-line block ×4, first 2 shown]
	v_fma_f32 v2, v2, v19, -v3
	v_pk_fma_f32 v[18:19], v[4:5], v[26:27], v[46:47] op_sel:[0,0,1] op_sel_hi:[1,1,0] neg_lo:[0,0,1] neg_hi:[0,0,1]
	v_pk_fma_f32 v[4:5], v[4:5], v[12:13], v[46:47] op_sel:[0,1,1] op_sel_hi:[1,1,0]
	v_pk_fma_f32 v[12:13], v[6:7], v[32:33], v[48:49] op_sel:[0,0,1] op_sel_hi:[1,1,0] neg_lo:[0,0,1] neg_hi:[0,0,1]
	v_pk_fma_f32 v[6:7], v[6:7], v[14:15], v[48:49] op_sel:[0,1,1] op_sel_hi:[1,1,0]
	;; [unrolled: 2-line block ×4, first 2 shown]
	v_fma_f32 v0, v0, v17, -v1
	v_mov_b32_e32 v19, v5
	v_mov_b32_e32 v13, v7
	;; [unrolled: 1-line block ×8, first 2 shown]
	v_pk_add_f32 v[8:9], v[18:19], v[20:21]
	v_pk_add_f32 v[10:11], v[18:19], v[20:21] neg_lo:[0,1] neg_hi:[0,1]
	v_pk_add_f32 v[18:19], v[12:13], v[14:15]
	v_pk_add_f32 v[12:13], v[12:13], v[14:15] neg_lo:[0,1] neg_hi:[0,1]
	v_pk_add_f32 v[14:15], v[16:17], v[44:45]
	v_pk_add_f32 v[16:17], v[40:41], v[42:43]
	v_mov_b32_e32 v5, v0
	v_mov_b32_e32 v7, v2
	;; [unrolled: 1-line block ×6, first 2 shown]
	v_pk_add_f32 v[34:35], v[16:17], v[14:15]
	v_pk_add_f32 v[0:1], v[2:3], v[0:1] neg_lo:[0,1] neg_hi:[0,1]
	v_pk_add_f32 v[2:3], v[4:5], v[6:7]
	v_mov_b32_e32 v21, v11
	v_mov_b32_e32 v22, v12
	v_mov_b32_e32 v26, v10
	v_mov_b32_e32 v33, v13
	v_mov_b32_e32 v38, v19
	v_mov_b32_e32 v40, v9
	v_mov_b32_e32 v14, v34
	v_mov_b32_e32 v16, v34
	v_mov_b32_e32 v20, v0
	v_mov_b32_e32 v23, v1
	v_mov_b32_e32 v27, v1
	v_mov_b32_e32 v32, v0
	v_mov_b32_e32 v39, v3
	v_mov_b32_e32 v41, v3
	v_pk_add_f32 v[2:3], v[2:3], v[34:35]
	v_pk_add_f32 v[4:5], v[20:21], v[22:23] neg_lo:[0,1] neg_hi:[0,1]
	v_pk_add_f32 v[6:7], v[26:27], v[32:33] neg_lo:[0,1] neg_hi:[0,1]
	;; [unrolled: 1-line block ×4, first 2 shown]
	v_pk_add_f32 v[0:1], v[0:1], v[12:13]
	v_pk_add_f32 v[24:25], v[2:3], v[24:25]
	v_pk_mul_f32 v[4:5], v[4:5], s[2:3]
	v_pk_mul_f32 v[26:27], v[6:7], s[4:5]
	s_mov_b32 s2, 0xbf955555
	v_pk_mul_f32 v[20:21], v[20:21], s[6:7]
	v_pk_mul_f32 v[32:33], v[22:23], s[8:9]
	v_mov_b32_e32 v16, v19
	v_mov_b32_e32 v14, v9
	v_pk_add_f32 v[0:1], v[0:1], v[10:11]
	v_pk_fma_f32 v[2:3], v[2:3], s[2:3], v[24:25] op_sel_hi:[1,0,1]
	v_pk_fma_f32 v[22:23], v[22:23], s[8:9], v[20:21]
	v_pk_fma_f32 v[6:7], v[6:7], s[4:5], v[4:5]
	v_pk_add_f32 v[10:11], v[12:13], v[10:11] neg_lo:[0,1] neg_hi:[0,1]
	s_mov_b32 s2, 0xbf5ff5aa
	v_pk_add_f32 v[8:9], v[16:17], v[14:15] neg_lo:[0,1] neg_hi:[0,1]
	s_mov_b32 s4, 0x3f3bfb3b
	v_mov_b32_e32 v12, v32
	v_mov_b32_e32 v13, v21
	;; [unrolled: 1-line block ×6, first 2 shown]
	v_pk_fma_f32 v[12:13], v[8:9], s[4:5], v[12:13] op_sel_hi:[1,0,1] neg_lo:[1,0,1] neg_hi:[1,0,1]
	v_pk_fma_f32 v[14:15], v[10:11], s[2:3], v[14:15] op_sel_hi:[1,0,1] neg_lo:[1,0,1] neg_hi:[1,0,1]
	;; [unrolled: 1-line block ×4, first 2 shown]
	v_pk_add_f32 v[22:23], v[22:23], v[2:3]
	v_pk_fma_f32 v[6:7], v[0:1], s[0:1], v[6:7] op_sel_hi:[1,0,1]
	v_pk_add_f32 v[12:13], v[12:13], v[2:3]
	v_pk_fma_f32 v[14:15], v[0:1], s[0:1], v[14:15] op_sel_hi:[1,0,1]
	;; [unrolled: 2-line block ×3, first 2 shown]
	v_pk_add_f32 v[34:35], v[22:23], v[6:7]
	v_pk_add_f32 v[6:7], v[22:23], v[6:7] neg_lo:[0,1] neg_hi:[0,1]
	v_pk_add_f32 v[16:17], v[12:13], v[14:15]
	v_pk_add_f32 v[12:13], v[12:13], v[14:15] neg_lo:[0,1] neg_hi:[0,1]
	v_pk_add_f32 v[4:5], v[2:3], v[0:1] neg_lo:[0,1] neg_hi:[0,1]
	v_pk_add_f32 v[0:1], v[2:3], v[0:1]
	v_mov_b32_e32 v22, v34
	v_mov_b32_e32 v23, v7
	;; [unrolled: 1-line block ×9, first 2 shown]
	ds_write2_b64 v31, v[24:25], v[22:23] offset1:16
	ds_write2_b64 v31, v[14:15], v[2:3] offset0:32 offset1:48
	ds_write2_b64 v31, v[0:1], v[12:13] offset0:64 offset1:80
	ds_write_b64 v31, v[6:7] offset:768
	s_waitcnt lgkmcnt(0)
	s_barrier
	s_and_saveexec_b64 s[0:1], vcc
	s_cbranch_execz .LBB0_23
; %bb.22:
	v_lshl_add_u32 v8, v30, 3, v36
	ds_read2_b64 v[0:3], v8 offset1:16
	v_mov_b32_e32 v31, 0
	v_add_u32_e32 v4, 16, v30
	v_lshl_add_u64 v[6:7], v[30:31], 3, v[28:29]
	v_mov_b32_e32 v5, v31
	s_waitcnt lgkmcnt(0)
	global_store_dwordx2 v[6:7], v[0:1], off
	v_lshl_add_u64 v[0:1], v[4:5], 3, v[28:29]
	ds_read2_b64 v[4:7], v8 offset0:32 offset1:48
	global_store_dwordx2 v[0:1], v[2:3], off
	v_add_u32_e32 v0, 32, v30
	v_mov_b32_e32 v1, v31
	v_lshl_add_u64 v[0:1], v[0:1], 3, v[28:29]
	s_waitcnt lgkmcnt(0)
	global_store_dwordx2 v[0:1], v[4:5], off
	v_add_u32_e32 v0, 48, v30
	v_mov_b32_e32 v1, v31
	v_lshl_add_u64 v[4:5], v[0:1], 3, v[28:29]
	ds_read2_b64 v[0:3], v8 offset0:64 offset1:80
	global_store_dwordx2 v[4:5], v[6:7], off
	v_add_u32_e32 v4, 64, v30
	v_mov_b32_e32 v5, v31
	v_lshl_add_u64 v[4:5], v[4:5], 3, v[28:29]
	s_waitcnt lgkmcnt(0)
	global_store_dwordx2 v[4:5], v[0:1], off
	ds_read_b64 v[4:5], v8 offset:768
	v_add_u32_e32 v0, 0x50, v30
	v_mov_b32_e32 v1, v31
	v_lshl_add_u64 v[0:1], v[0:1], 3, v[28:29]
	v_add_u32_e32 v30, 0x60, v30
	global_store_dwordx2 v[0:1], v[2:3], off
	v_lshl_add_u64 v[0:1], v[30:31], 3, v[28:29]
	s_waitcnt lgkmcnt(0)
	global_store_dwordx2 v[0:1], v[4:5], off
.LBB0_23:
	s_endpgm
	.section	.rodata,"a",@progbits
	.p2align	6, 0x0
	.amdhsa_kernel fft_rtc_back_len112_factors_16_7_wgs_256_tpt_16_sp_ip_CI_unitstride_sbrr_C2R_dirReg
		.amdhsa_group_segment_fixed_size 0
		.amdhsa_private_segment_fixed_size 0
		.amdhsa_kernarg_size 88
		.amdhsa_user_sgpr_count 2
		.amdhsa_user_sgpr_dispatch_ptr 0
		.amdhsa_user_sgpr_queue_ptr 0
		.amdhsa_user_sgpr_kernarg_segment_ptr 1
		.amdhsa_user_sgpr_dispatch_id 0
		.amdhsa_user_sgpr_kernarg_preload_length 0
		.amdhsa_user_sgpr_kernarg_preload_offset 0
		.amdhsa_user_sgpr_private_segment_size 0
		.amdhsa_uses_dynamic_stack 0
		.amdhsa_enable_private_segment 0
		.amdhsa_system_sgpr_workgroup_id_x 1
		.amdhsa_system_sgpr_workgroup_id_y 0
		.amdhsa_system_sgpr_workgroup_id_z 0
		.amdhsa_system_sgpr_workgroup_info 0
		.amdhsa_system_vgpr_workitem_id 0
		.amdhsa_next_free_vgpr 54
		.amdhsa_next_free_sgpr 22
		.amdhsa_accum_offset 56
		.amdhsa_reserve_vcc 1
		.amdhsa_float_round_mode_32 0
		.amdhsa_float_round_mode_16_64 0
		.amdhsa_float_denorm_mode_32 3
		.amdhsa_float_denorm_mode_16_64 3
		.amdhsa_dx10_clamp 1
		.amdhsa_ieee_mode 1
		.amdhsa_fp16_overflow 0
		.amdhsa_tg_split 0
		.amdhsa_exception_fp_ieee_invalid_op 0
		.amdhsa_exception_fp_denorm_src 0
		.amdhsa_exception_fp_ieee_div_zero 0
		.amdhsa_exception_fp_ieee_overflow 0
		.amdhsa_exception_fp_ieee_underflow 0
		.amdhsa_exception_fp_ieee_inexact 0
		.amdhsa_exception_int_div_zero 0
	.end_amdhsa_kernel
	.text
.Lfunc_end0:
	.size	fft_rtc_back_len112_factors_16_7_wgs_256_tpt_16_sp_ip_CI_unitstride_sbrr_C2R_dirReg, .Lfunc_end0-fft_rtc_back_len112_factors_16_7_wgs_256_tpt_16_sp_ip_CI_unitstride_sbrr_C2R_dirReg
                                        ; -- End function
	.section	.AMDGPU.csdata,"",@progbits
; Kernel info:
; codeLenInByte = 4392
; NumSgprs: 28
; NumVgprs: 54
; NumAgprs: 0
; TotalNumVgprs: 54
; ScratchSize: 0
; MemoryBound: 0
; FloatMode: 240
; IeeeMode: 1
; LDSByteSize: 0 bytes/workgroup (compile time only)
; SGPRBlocks: 3
; VGPRBlocks: 6
; NumSGPRsForWavesPerEU: 28
; NumVGPRsForWavesPerEU: 54
; AccumOffset: 56
; Occupancy: 8
; WaveLimiterHint : 1
; COMPUTE_PGM_RSRC2:SCRATCH_EN: 0
; COMPUTE_PGM_RSRC2:USER_SGPR: 2
; COMPUTE_PGM_RSRC2:TRAP_HANDLER: 0
; COMPUTE_PGM_RSRC2:TGID_X_EN: 1
; COMPUTE_PGM_RSRC2:TGID_Y_EN: 0
; COMPUTE_PGM_RSRC2:TGID_Z_EN: 0
; COMPUTE_PGM_RSRC2:TIDIG_COMP_CNT: 0
; COMPUTE_PGM_RSRC3_GFX90A:ACCUM_OFFSET: 13
; COMPUTE_PGM_RSRC3_GFX90A:TG_SPLIT: 0
	.text
	.p2alignl 6, 3212836864
	.fill 256, 4, 3212836864
	.type	__hip_cuid_a78ee3d21ac037a9,@object ; @__hip_cuid_a78ee3d21ac037a9
	.section	.bss,"aw",@nobits
	.globl	__hip_cuid_a78ee3d21ac037a9
__hip_cuid_a78ee3d21ac037a9:
	.byte	0                               ; 0x0
	.size	__hip_cuid_a78ee3d21ac037a9, 1

	.ident	"AMD clang version 19.0.0git (https://github.com/RadeonOpenCompute/llvm-project roc-6.4.0 25133 c7fe45cf4b819c5991fe208aaa96edf142730f1d)"
	.section	".note.GNU-stack","",@progbits
	.addrsig
	.addrsig_sym __hip_cuid_a78ee3d21ac037a9
	.amdgpu_metadata
---
amdhsa.kernels:
  - .agpr_count:     0
    .args:
      - .actual_access:  read_only
        .address_space:  global
        .offset:         0
        .size:           8
        .value_kind:     global_buffer
      - .offset:         8
        .size:           8
        .value_kind:     by_value
      - .actual_access:  read_only
        .address_space:  global
        .offset:         16
        .size:           8
        .value_kind:     global_buffer
      - .actual_access:  read_only
        .address_space:  global
        .offset:         24
        .size:           8
        .value_kind:     global_buffer
      - .offset:         32
        .size:           8
        .value_kind:     by_value
      - .actual_access:  read_only
        .address_space:  global
        .offset:         40
        .size:           8
        .value_kind:     global_buffer
      - .actual_access:  read_only
        .address_space:  global
        .offset:         48
        .size:           8
        .value_kind:     global_buffer
      - .offset:         56
        .size:           4
        .value_kind:     by_value
      - .actual_access:  read_only
        .address_space:  global
        .offset:         64
        .size:           8
        .value_kind:     global_buffer
      - .actual_access:  read_only
        .address_space:  global
        .offset:         72
        .size:           8
        .value_kind:     global_buffer
      - .address_space:  global
        .offset:         80
        .size:           8
        .value_kind:     global_buffer
    .group_segment_fixed_size: 0
    .kernarg_segment_align: 8
    .kernarg_segment_size: 88
    .language:       OpenCL C
    .language_version:
      - 2
      - 0
    .max_flat_workgroup_size: 256
    .name:           fft_rtc_back_len112_factors_16_7_wgs_256_tpt_16_sp_ip_CI_unitstride_sbrr_C2R_dirReg
    .private_segment_fixed_size: 0
    .sgpr_count:     28
    .sgpr_spill_count: 0
    .symbol:         fft_rtc_back_len112_factors_16_7_wgs_256_tpt_16_sp_ip_CI_unitstride_sbrr_C2R_dirReg.kd
    .uniform_work_group_size: 1
    .uses_dynamic_stack: false
    .vgpr_count:     54
    .vgpr_spill_count: 0
    .wavefront_size: 64
amdhsa.target:   amdgcn-amd-amdhsa--gfx950
amdhsa.version:
  - 1
  - 2
...

	.end_amdgpu_metadata
